;; amdgpu-corpus repo=ROCm/rocFFT kind=compiled arch=gfx1201 opt=O3
	.text
	.amdgcn_target "amdgcn-amd-amdhsa--gfx1201"
	.amdhsa_code_object_version 6
	.protected	fft_rtc_back_len110_factors_2_5_11_wgs_198_tpt_11_half_op_CI_CI_sbrr_dirReg ; -- Begin function fft_rtc_back_len110_factors_2_5_11_wgs_198_tpt_11_half_op_CI_CI_sbrr_dirReg
	.globl	fft_rtc_back_len110_factors_2_5_11_wgs_198_tpt_11_half_op_CI_CI_sbrr_dirReg
	.p2align	8
	.type	fft_rtc_back_len110_factors_2_5_11_wgs_198_tpt_11_half_op_CI_CI_sbrr_dirReg,@function
fft_rtc_back_len110_factors_2_5_11_wgs_198_tpt_11_half_op_CI_CI_sbrr_dirReg: ; @fft_rtc_back_len110_factors_2_5_11_wgs_198_tpt_11_half_op_CI_CI_sbrr_dirReg
; %bb.0:
	s_clause 0x1
	s_load_b128 s[12:15], s[0:1], 0x18
	s_load_b128 s[8:11], s[0:1], 0x0
	v_mul_u32_u24_e32 v1, 0x1746, v0
	v_mov_b32_e32 v5, 0
	v_mov_b32_e32 v3, 0
	v_mov_b32_e32 v4, 0
	s_load_b128 s[4:7], s[0:1], 0x58
	s_wait_kmcnt 0x0
	s_load_b64 s[18:19], s[12:13], 0x0
	s_load_b64 s[16:17], s[14:15], 0x0
	v_lshrrev_b32_e32 v1, 16, v1
	v_cmp_lt_u64_e64 s2, s[10:11], 2
	v_dual_mov_b32 v9, v4 :: v_dual_mov_b32 v8, v3
	s_delay_alu instid0(VALU_DEP_3) | instskip(SKIP_1) | instid1(VALU_DEP_4)
	v_mad_co_u64_u32 v[1:2], null, ttmp9, 18, v[1:2]
	v_mov_b32_e32 v2, v5
	s_and_b32 vcc_lo, exec_lo, s2
	s_delay_alu instid0(VALU_DEP_1)
	v_dual_mov_b32 v21, v2 :: v_dual_mov_b32 v20, v1
	s_cbranch_vccnz .LBB0_8
; %bb.1:
	s_load_b64 s[2:3], s[0:1], 0x10
	v_mov_b32_e32 v3, 0
	v_dual_mov_b32 v4, 0 :: v_dual_mov_b32 v11, v2
	v_mov_b32_e32 v10, v1
	s_add_nc_u64 s[20:21], s[14:15], 8
	s_add_nc_u64 s[22:23], s[12:13], 8
	s_delay_alu instid0(VALU_DEP_2)
	v_dual_mov_b32 v9, v4 :: v_dual_mov_b32 v8, v3
	s_mov_b64 s[24:25], 1
	s_wait_kmcnt 0x0
	s_add_nc_u64 s[26:27], s[2:3], 8
	s_mov_b32 s3, 0
.LBB0_2:                                ; =>This Inner Loop Header: Depth=1
	s_load_b64 s[28:29], s[26:27], 0x0
                                        ; implicit-def: $vgpr20_vgpr21
	s_mov_b32 s2, exec_lo
	s_wait_kmcnt 0x0
	v_or_b32_e32 v6, s29, v11
	s_delay_alu instid0(VALU_DEP_1)
	v_cmpx_ne_u64_e32 0, v[5:6]
	s_wait_alu 0xfffe
	s_xor_b32 s30, exec_lo, s2
	s_cbranch_execz .LBB0_4
; %bb.3:                                ;   in Loop: Header=BB0_2 Depth=1
	s_cvt_f32_u32 s2, s28
	s_cvt_f32_u32 s31, s29
	s_sub_nc_u64 s[36:37], 0, s[28:29]
	s_wait_alu 0xfffe
	s_delay_alu instid0(SALU_CYCLE_1) | instskip(SKIP_1) | instid1(SALU_CYCLE_2)
	s_fmamk_f32 s2, s31, 0x4f800000, s2
	s_wait_alu 0xfffe
	v_s_rcp_f32 s2, s2
	s_delay_alu instid0(TRANS32_DEP_1) | instskip(SKIP_1) | instid1(SALU_CYCLE_2)
	s_mul_f32 s2, s2, 0x5f7ffffc
	s_wait_alu 0xfffe
	s_mul_f32 s31, s2, 0x2f800000
	s_wait_alu 0xfffe
	s_delay_alu instid0(SALU_CYCLE_2) | instskip(SKIP_1) | instid1(SALU_CYCLE_2)
	s_trunc_f32 s31, s31
	s_wait_alu 0xfffe
	s_fmamk_f32 s2, s31, 0xcf800000, s2
	s_cvt_u32_f32 s35, s31
	s_wait_alu 0xfffe
	s_delay_alu instid0(SALU_CYCLE_1) | instskip(SKIP_1) | instid1(SALU_CYCLE_2)
	s_cvt_u32_f32 s34, s2
	s_wait_alu 0xfffe
	s_mul_u64 s[38:39], s[36:37], s[34:35]
	s_wait_alu 0xfffe
	s_mul_hi_u32 s41, s34, s39
	s_mul_i32 s40, s34, s39
	s_mul_hi_u32 s2, s34, s38
	s_mul_i32 s33, s35, s38
	s_wait_alu 0xfffe
	s_add_nc_u64 s[40:41], s[2:3], s[40:41]
	s_mul_hi_u32 s31, s35, s38
	s_mul_hi_u32 s42, s35, s39
	s_add_co_u32 s2, s40, s33
	s_wait_alu 0xfffe
	s_add_co_ci_u32 s2, s41, s31
	s_mul_i32 s38, s35, s39
	s_add_co_ci_u32 s39, s42, 0
	s_wait_alu 0xfffe
	s_add_nc_u64 s[38:39], s[2:3], s[38:39]
	s_wait_alu 0xfffe
	v_add_co_u32 v2, s2, s34, s38
	s_delay_alu instid0(VALU_DEP_1) | instskip(SKIP_1) | instid1(VALU_DEP_1)
	s_cmp_lg_u32 s2, 0
	s_add_co_ci_u32 s35, s35, s39
	v_readfirstlane_b32 s34, v2
	s_wait_alu 0xfffe
	s_delay_alu instid0(VALU_DEP_1)
	s_mul_u64 s[36:37], s[36:37], s[34:35]
	s_wait_alu 0xfffe
	s_mul_hi_u32 s39, s34, s37
	s_mul_i32 s38, s34, s37
	s_mul_hi_u32 s2, s34, s36
	s_mul_i32 s33, s35, s36
	s_wait_alu 0xfffe
	s_add_nc_u64 s[38:39], s[2:3], s[38:39]
	s_mul_hi_u32 s31, s35, s36
	s_mul_hi_u32 s34, s35, s37
	s_wait_alu 0xfffe
	s_add_co_u32 s2, s38, s33
	s_add_co_ci_u32 s2, s39, s31
	s_mul_i32 s36, s35, s37
	s_add_co_ci_u32 s37, s34, 0
	s_wait_alu 0xfffe
	s_add_nc_u64 s[36:37], s[2:3], s[36:37]
	s_wait_alu 0xfffe
	v_add_co_u32 v2, s2, v2, s36
	s_delay_alu instid0(VALU_DEP_1) | instskip(SKIP_1) | instid1(VALU_DEP_1)
	s_cmp_lg_u32 s2, 0
	s_add_co_ci_u32 s2, s35, s37
	v_mul_hi_u32 v16, v10, v2
	s_wait_alu 0xfffe
	v_mad_co_u64_u32 v[6:7], null, v10, s2, 0
	v_mad_co_u64_u32 v[12:13], null, v11, v2, 0
	;; [unrolled: 1-line block ×3, first 2 shown]
	s_delay_alu instid0(VALU_DEP_3) | instskip(SKIP_1) | instid1(VALU_DEP_4)
	v_add_co_u32 v2, vcc_lo, v16, v6
	s_wait_alu 0xfffd
	v_add_co_ci_u32_e32 v6, vcc_lo, 0, v7, vcc_lo
	s_delay_alu instid0(VALU_DEP_2) | instskip(SKIP_1) | instid1(VALU_DEP_2)
	v_add_co_u32 v2, vcc_lo, v2, v12
	s_wait_alu 0xfffd
	v_add_co_ci_u32_e32 v2, vcc_lo, v6, v13, vcc_lo
	s_wait_alu 0xfffd
	v_add_co_ci_u32_e32 v6, vcc_lo, 0, v15, vcc_lo
	s_delay_alu instid0(VALU_DEP_2) | instskip(SKIP_1) | instid1(VALU_DEP_2)
	v_add_co_u32 v2, vcc_lo, v2, v14
	s_wait_alu 0xfffd
	v_add_co_ci_u32_e32 v12, vcc_lo, 0, v6, vcc_lo
	s_delay_alu instid0(VALU_DEP_2) | instskip(SKIP_1) | instid1(VALU_DEP_3)
	v_mul_lo_u32 v13, s29, v2
	v_mad_co_u64_u32 v[6:7], null, s28, v2, 0
	v_mul_lo_u32 v14, s28, v12
	s_delay_alu instid0(VALU_DEP_2) | instskip(NEXT) | instid1(VALU_DEP_2)
	v_sub_co_u32 v6, vcc_lo, v10, v6
	v_add3_u32 v7, v7, v14, v13
	s_delay_alu instid0(VALU_DEP_1) | instskip(SKIP_1) | instid1(VALU_DEP_1)
	v_sub_nc_u32_e32 v13, v11, v7
	s_wait_alu 0xfffd
	v_subrev_co_ci_u32_e64 v13, s2, s29, v13, vcc_lo
	v_add_co_u32 v14, s2, v2, 2
	s_wait_alu 0xf1ff
	v_add_co_ci_u32_e64 v15, s2, 0, v12, s2
	v_sub_co_u32 v16, s2, v6, s28
	v_sub_co_ci_u32_e32 v7, vcc_lo, v11, v7, vcc_lo
	s_wait_alu 0xf1ff
	v_subrev_co_ci_u32_e64 v13, s2, 0, v13, s2
	s_delay_alu instid0(VALU_DEP_3) | instskip(NEXT) | instid1(VALU_DEP_3)
	v_cmp_le_u32_e32 vcc_lo, s28, v16
	v_cmp_eq_u32_e64 s2, s29, v7
	s_wait_alu 0xfffd
	v_cndmask_b32_e64 v16, 0, -1, vcc_lo
	v_cmp_le_u32_e32 vcc_lo, s29, v13
	s_wait_alu 0xfffd
	v_cndmask_b32_e64 v17, 0, -1, vcc_lo
	v_cmp_le_u32_e32 vcc_lo, s28, v6
	;; [unrolled: 3-line block ×3, first 2 shown]
	s_wait_alu 0xfffd
	v_cndmask_b32_e64 v18, 0, -1, vcc_lo
	v_cmp_eq_u32_e32 vcc_lo, s29, v13
	s_wait_alu 0xf1ff
	s_delay_alu instid0(VALU_DEP_2)
	v_cndmask_b32_e64 v6, v18, v6, s2
	s_wait_alu 0xfffd
	v_cndmask_b32_e32 v13, v17, v16, vcc_lo
	v_add_co_u32 v16, vcc_lo, v2, 1
	s_wait_alu 0xfffd
	v_add_co_ci_u32_e32 v17, vcc_lo, 0, v12, vcc_lo
	s_delay_alu instid0(VALU_DEP_3) | instskip(SKIP_2) | instid1(VALU_DEP_3)
	v_cmp_ne_u32_e32 vcc_lo, 0, v13
	s_wait_alu 0xfffd
	v_cndmask_b32_e32 v13, v16, v14, vcc_lo
	v_cndmask_b32_e32 v7, v17, v15, vcc_lo
	v_cmp_ne_u32_e32 vcc_lo, 0, v6
	s_wait_alu 0xfffd
	s_delay_alu instid0(VALU_DEP_2)
	v_dual_cndmask_b32 v20, v2, v13 :: v_dual_cndmask_b32 v21, v12, v7
.LBB0_4:                                ;   in Loop: Header=BB0_2 Depth=1
	s_wait_alu 0xfffe
	s_and_not1_saveexec_b32 s2, s30
	s_cbranch_execz .LBB0_6
; %bb.5:                                ;   in Loop: Header=BB0_2 Depth=1
	v_cvt_f32_u32_e32 v2, s28
	s_sub_co_i32 s30, 0, s28
	v_mov_b32_e32 v21, v5
	s_delay_alu instid0(VALU_DEP_2) | instskip(NEXT) | instid1(TRANS32_DEP_1)
	v_rcp_iflag_f32_e32 v2, v2
	v_mul_f32_e32 v2, 0x4f7ffffe, v2
	s_delay_alu instid0(VALU_DEP_1) | instskip(SKIP_1) | instid1(VALU_DEP_1)
	v_cvt_u32_f32_e32 v2, v2
	s_wait_alu 0xfffe
	v_mul_lo_u32 v6, s30, v2
	s_delay_alu instid0(VALU_DEP_1) | instskip(NEXT) | instid1(VALU_DEP_1)
	v_mul_hi_u32 v6, v2, v6
	v_add_nc_u32_e32 v2, v2, v6
	s_delay_alu instid0(VALU_DEP_1) | instskip(NEXT) | instid1(VALU_DEP_1)
	v_mul_hi_u32 v2, v10, v2
	v_mul_lo_u32 v6, v2, s28
	s_delay_alu instid0(VALU_DEP_1) | instskip(NEXT) | instid1(VALU_DEP_1)
	v_sub_nc_u32_e32 v6, v10, v6
	v_subrev_nc_u32_e32 v12, s28, v6
	v_cmp_le_u32_e32 vcc_lo, s28, v6
	s_wait_alu 0xfffd
	s_delay_alu instid0(VALU_DEP_2) | instskip(NEXT) | instid1(VALU_DEP_1)
	v_dual_cndmask_b32 v6, v6, v12 :: v_dual_add_nc_u32 v7, 1, v2
	v_cndmask_b32_e32 v2, v2, v7, vcc_lo
	s_delay_alu instid0(VALU_DEP_2) | instskip(NEXT) | instid1(VALU_DEP_2)
	v_cmp_le_u32_e32 vcc_lo, s28, v6
	v_add_nc_u32_e32 v7, 1, v2
	s_wait_alu 0xfffd
	s_delay_alu instid0(VALU_DEP_1)
	v_cndmask_b32_e32 v20, v2, v7, vcc_lo
.LBB0_6:                                ;   in Loop: Header=BB0_2 Depth=1
	s_wait_alu 0xfffe
	s_or_b32 exec_lo, exec_lo, s2
	v_mul_lo_u32 v2, v21, s28
	s_delay_alu instid0(VALU_DEP_2)
	v_mul_lo_u32 v12, v20, s29
	s_load_b64 s[30:31], s[22:23], 0x0
	v_mad_co_u64_u32 v[6:7], null, v20, s28, 0
	s_load_b64 s[28:29], s[20:21], 0x0
	s_add_nc_u64 s[24:25], s[24:25], 1
	s_add_nc_u64 s[20:21], s[20:21], 8
	s_wait_alu 0xfffe
	v_cmp_ge_u64_e64 s2, s[24:25], s[10:11]
	s_add_nc_u64 s[22:23], s[22:23], 8
	s_add_nc_u64 s[26:27], s[26:27], 8
	v_add3_u32 v2, v7, v12, v2
	v_sub_co_u32 v6, vcc_lo, v10, v6
	s_wait_alu 0xfffd
	s_delay_alu instid0(VALU_DEP_2) | instskip(SKIP_2) | instid1(VALU_DEP_1)
	v_sub_co_ci_u32_e32 v2, vcc_lo, v11, v2, vcc_lo
	s_and_b32 vcc_lo, exec_lo, s2
	s_wait_kmcnt 0x0
	v_mul_lo_u32 v7, s30, v2
	v_mul_lo_u32 v10, s31, v6
	v_mad_co_u64_u32 v[3:4], null, s30, v6, v[3:4]
	v_mul_lo_u32 v2, s28, v2
	v_mul_lo_u32 v11, s29, v6
	v_mad_co_u64_u32 v[8:9], null, s28, v6, v[8:9]
	s_delay_alu instid0(VALU_DEP_4) | instskip(NEXT) | instid1(VALU_DEP_2)
	v_add3_u32 v4, v10, v4, v7
	v_add3_u32 v9, v11, v9, v2
	s_wait_alu 0xfffe
	s_cbranch_vccnz .LBB0_8
; %bb.7:                                ;   in Loop: Header=BB0_2 Depth=1
	v_dual_mov_b32 v10, v20 :: v_dual_mov_b32 v11, v21
	s_branch .LBB0_2
.LBB0_8:
	s_load_b64 s[0:1], s[0:1], 0x28
	v_mul_hi_u32 v15, 0x1745d175, v0
	s_lshl_b64 s[10:11], s[10:11], 3
                                        ; implicit-def: $sgpr2
                                        ; implicit-def: $vgpr26
                                        ; implicit-def: $vgpr2
                                        ; implicit-def: $vgpr6
                                        ; implicit-def: $vgpr5
	s_wait_kmcnt 0x0
	v_cmp_gt_u64_e32 vcc_lo, s[0:1], v[20:21]
	v_cmp_le_u64_e64 s0, s[0:1], v[20:21]
	s_delay_alu instid0(VALU_DEP_1)
	s_and_saveexec_b32 s1, s0
	s_wait_alu 0xfffe
	s_xor_b32 s0, exec_lo, s1
; %bb.9:
	v_mul_u32_u24_e32 v2, 11, v15
	s_mov_b32 s2, 0
                                        ; implicit-def: $vgpr15
                                        ; implicit-def: $vgpr3_vgpr4
	s_delay_alu instid0(VALU_DEP_1) | instskip(NEXT) | instid1(VALU_DEP_1)
	v_sub_nc_u32_e32 v26, v0, v2
                                        ; implicit-def: $vgpr0
	v_add_nc_u32_e32 v2, 11, v26
	v_add_nc_u32_e32 v6, 22, v26
	;; [unrolled: 1-line block ×3, first 2 shown]
; %bb.10:
	s_wait_alu 0xfffe
	s_or_saveexec_b32 s1, s0
	v_dual_mov_b32 v7, s2 :: v_dual_mov_b32 v10, s2
	v_dual_mov_b32 v12, s2 :: v_dual_mov_b32 v11, s2
	v_mov_b32_e32 v13, s2
	s_add_nc_u64 s[2:3], s[14:15], s[10:11]
                                        ; implicit-def: $vgpr14
                                        ; implicit-def: $vgpr19
                                        ; implicit-def: $vgpr16
                                        ; implicit-def: $vgpr17
                                        ; implicit-def: $vgpr18
	s_wait_alu 0xfffe
	s_xor_b32 exec_lo, exec_lo, s1
	s_cbranch_execz .LBB0_12
; %bb.11:
	s_add_nc_u64 s[10:11], s[12:13], s[10:11]
	v_mul_u32_u24_e32 v2, 11, v15
	s_load_b64 s[10:11], s[10:11], 0x0
	v_lshlrev_b64_e32 v[3:4], 2, v[3:4]
	s_delay_alu instid0(VALU_DEP_2) | instskip(NEXT) | instid1(VALU_DEP_1)
	v_sub_nc_u32_e32 v26, v0, v2
	v_mad_co_u64_u32 v[10:11], null, s18, v26, 0
	v_add_nc_u32_e32 v7, 55, v26
	v_add_nc_u32_e32 v2, 11, v26
	v_add_nc_u32_e32 v33, 0x58, v26
	s_delay_alu instid0(VALU_DEP_2)
	v_mad_co_u64_u32 v[14:15], null, s18, v2, 0
	v_mov_b32_e32 v0, v11
	v_mad_co_u64_u32 v[12:13], null, s18, v7, 0
	s_wait_kmcnt 0x0
	v_mul_lo_u32 v11, s11, v20
	v_mul_lo_u32 v24, s10, v21
	v_mad_co_u64_u32 v[16:17], null, s10, v20, 0
	v_add_nc_u32_e32 v29, 0x42, v26
	v_mad_co_u64_u32 v[18:19], null, s19, v26, v[0:1]
	v_mov_b32_e32 v0, v13
	v_add_nc_u32_e32 v6, 22, v26
	s_delay_alu instid0(VALU_DEP_4) | instskip(SKIP_4) | instid1(VALU_DEP_4)
	v_mad_co_u64_u32 v[22:23], null, s18, v29, 0
	v_add3_u32 v17, v17, v24, v11
	v_mov_b32_e32 v5, v15
	v_mov_b32_e32 v11, v18
	v_mad_co_u64_u32 v[24:25], null, s19, v7, v[0:1]
	v_lshlrev_b64_e32 v[15:16], 2, v[16:17]
	v_mad_co_u64_u32 v[27:28], null, s18, v6, 0
	v_mad_co_u64_u32 v[17:18], null, s19, v2, v[5:6]
	s_delay_alu instid0(VALU_DEP_4) | instskip(NEXT) | instid1(VALU_DEP_4)
	v_dual_mov_b32 v0, v23 :: v_dual_mov_b32 v13, v24
	v_add_co_u32 v5, s0, s4, v15
	s_wait_alu 0xf1ff
	v_add_co_ci_u32_e64 v7, s0, s5, v16, s0
	s_delay_alu instid0(VALU_DEP_4) | instskip(NEXT) | instid1(VALU_DEP_3)
	v_mov_b32_e32 v15, v17
	v_add_co_u32 v37, s0, v5, v3
	s_wait_alu 0xf1ff
	s_delay_alu instid0(VALU_DEP_3)
	v_add_co_ci_u32_e64 v7, s0, v7, v4, s0
	v_lshlrev_b64_e32 v[3:4], 2, v[12:13]
	v_mad_co_u64_u32 v[12:13], null, s19, v29, v[0:1]
	v_mov_b32_e32 v0, v28
	v_lshlrev_b64_e32 v[13:14], 2, v[14:15]
	v_lshlrev_b64_e32 v[10:11], 2, v[10:11]
	v_add_nc_u32_e32 v25, 33, v26
	s_delay_alu instid0(VALU_DEP_4) | instskip(SKIP_1) | instid1(VALU_DEP_4)
	v_mad_co_u64_u32 v[15:16], null, s19, v6, v[0:1]
	v_add_nc_u32_e32 v5, 0x4d, v26
	v_add_co_u32 v10, s0, v37, v10
	s_wait_alu 0xf1ff
	v_add_co_ci_u32_e64 v11, s0, v7, v11, s0
	v_add_co_u32 v3, s0, v37, v3
	v_mov_b32_e32 v28, v15
	v_mad_co_u64_u32 v[16:17], null, s18, v5, 0
	s_wait_alu 0xf1ff
	v_add_co_ci_u32_e64 v4, s0, v7, v4, s0
	v_mov_b32_e32 v23, v12
	v_add_co_u32 v12, s0, v37, v13
	s_wait_alu 0xf1ff
	v_add_co_ci_u32_e64 v13, s0, v7, v14, s0
	v_mov_b32_e32 v0, v17
	v_mad_co_u64_u32 v[14:15], null, s18, v25, 0
	v_lshlrev_b64_e32 v[18:19], 2, v[22:23]
	s_delay_alu instid0(VALU_DEP_3) | instskip(SKIP_1) | instid1(VALU_DEP_4)
	v_mad_co_u64_u32 v[22:23], null, s19, v5, v[0:1]
	v_mad_co_u64_u32 v[23:24], null, s18, v33, 0
	v_dual_mov_b32 v0, v15 :: v_dual_add_nc_u32 v5, 44, v26
	s_delay_alu instid0(VALU_DEP_4)
	v_add_co_u32 v29, s0, v37, v18
	s_wait_alu 0xf1ff
	v_add_co_ci_u32_e64 v30, s0, v7, v19, s0
	v_lshlrev_b64_e32 v[18:19], 2, v[27:28]
	v_dual_mov_b32 v17, v22 :: v_dual_add_nc_u32 v22, 0x63, v26
	v_mad_co_u64_u32 v[27:28], null, s19, v25, v[0:1]
	v_mov_b32_e32 v0, v24
	v_mad_co_u64_u32 v[31:32], null, s18, v5, 0
	v_add_co_u32 v35, s0, v37, v18
	s_delay_alu instid0(VALU_DEP_3) | instskip(SKIP_1) | instid1(VALU_DEP_4)
	v_mad_co_u64_u32 v[24:25], null, s19, v33, v[0:1]
	v_mad_co_u64_u32 v[33:34], null, s18, v22, 0
	v_mov_b32_e32 v0, v32
	s_wait_alu 0xf1ff
	v_add_co_ci_u32_e64 v36, s0, v7, v19, s0
	v_mov_b32_e32 v15, v27
	v_lshlrev_b64_e32 v[16:17], 2, v[16:17]
	v_mad_co_u64_u32 v[18:19], null, s19, v5, v[0:1]
	v_mov_b32_e32 v0, v34
	s_delay_alu instid0(VALU_DEP_4) | instskip(NEXT) | instid1(VALU_DEP_4)
	v_lshlrev_b64_e32 v[14:15], 2, v[14:15]
	v_add_co_u32 v16, s0, v37, v16
	s_delay_alu instid0(VALU_DEP_3)
	v_mad_co_u64_u32 v[27:28], null, s19, v22, v[0:1]
	v_mov_b32_e32 v32, v18
	v_lshlrev_b64_e32 v[22:23], 2, v[23:24]
	s_wait_alu 0xf1ff
	v_add_co_ci_u32_e64 v17, s0, v7, v17, s0
	v_add_co_u32 v14, s0, v37, v14
	v_mov_b32_e32 v34, v27
	v_lshlrev_b64_e32 v[18:19], 2, v[31:32]
	s_wait_alu 0xf1ff
	v_add_co_ci_u32_e64 v15, s0, v7, v15, s0
	v_add_co_u32 v22, s0, v37, v22
	v_lshlrev_b64_e32 v[24:25], 2, v[33:34]
	s_wait_alu 0xf1ff
	v_add_co_ci_u32_e64 v23, s0, v7, v23, s0
	v_add_co_u32 v27, s0, v37, v18
	s_wait_alu 0xf1ff
	v_add_co_ci_u32_e64 v28, s0, v7, v19, s0
	v_add_co_u32 v24, s0, v37, v24
	s_wait_alu 0xf1ff
	v_add_co_ci_u32_e64 v25, s0, v7, v25, s0
	s_clause 0x9
	global_load_b32 v7, v[10:11], off
	global_load_b32 v19, v[3:4], off
	;; [unrolled: 1-line block ×10, first 2 shown]
.LBB0_12:
	s_or_b32 exec_lo, exec_lo, s1
	v_mul_hi_u32 v0, 0x38e38e39, v1
	s_wait_loadcnt 0x8
	v_pk_add_f16 v3, v7, v19 neg_lo:[0,1] neg_hi:[0,1]
	v_lshrrev_b32_e32 v4, 16, v7
	s_wait_loadcnt 0x6
	v_pk_add_f16 v15, v10, v18 neg_lo:[0,1] neg_hi:[0,1]
	s_wait_loadcnt 0x4
	v_pk_add_f16 v17, v12, v17 neg_lo:[0,1] neg_hi:[0,1]
	v_and_b32_e32 v19, 1, v26
	v_lshrrev_b32_e32 v18, 16, v3
	v_and_b32_e32 v27, 1, v2
	v_lshrrev_b32_e32 v0, 2, v0
	s_wait_loadcnt 0x2
	v_pk_add_f16 v16, v11, v16 neg_lo:[0,1] neg_hi:[0,1]
	s_wait_loadcnt 0x0
	v_pk_add_f16 v14, v13, v14 neg_lo:[0,1] neg_hi:[0,1]
	v_fma_f16 v4, v4, 2.0, -v18
	v_lshlrev_b32_e32 v22, 4, v27
	v_mul_lo_u32 v0, v0, 18
	s_load_b64 s[2:3], s[2:3], 0x0
	v_cmp_gt_u32_e64 s0, 10, v26
	v_lshlrev_b32_e32 v4, 16, v4
	s_delay_alu instid0(VALU_DEP_3)
	v_sub_nc_u32_e32 v0, v1, v0
	v_fma_f16 v1, v7, 2.0, -v3
	v_pk_fma_f16 v7, v10, 2.0, v15 op_sel_hi:[1,0,1] neg_lo:[0,0,1] neg_hi:[0,0,1]
	v_pk_fma_f16 v10, v12, 2.0, v17 op_sel_hi:[1,0,1] neg_lo:[0,0,1] neg_hi:[0,0,1]
	v_lshlrev_b32_e32 v12, 4, v19
	v_mul_u32_u24_e32 v0, 0x6e, v0
	v_and_b32_e32 v1, 0xffff, v1
	s_delay_alu instid0(VALU_DEP_2) | instskip(NEXT) | instid1(VALU_DEP_2)
	v_lshl_add_u32 v18, v0, 2, 0
	v_or_b32_e32 v1, v4, v1
	v_pk_fma_f16 v0, v11, 2.0, v16 op_sel_hi:[1,0,1] neg_lo:[0,0,1] neg_hi:[0,0,1]
	v_pk_fma_f16 v11, v13, 2.0, v14 op_sel_hi:[1,0,1] neg_lo:[0,0,1] neg_hi:[0,0,1]
	s_delay_alu instid0(VALU_DEP_4)
	v_lshl_add_u32 v4, v26, 3, v18
	v_lshl_add_u32 v28, v2, 3, v18
	v_lshl_add_u32 v29, v6, 3, v18
	v_lshl_add_u32 v30, v5, 3, v18
	v_lshlrev_b32_e32 v5, 2, v5
	ds_store_2addr_b32 v4, v1, v3 offset1:1
	ds_store_2addr_b32 v28, v7, v15 offset1:1
	;; [unrolled: 1-line block ×3, first 2 shown]
	ds_store_2addr_b32 v4, v0, v16 offset0:66 offset1:67
	ds_store_2addr_b32 v30, v11, v14 offset1:1
	global_wb scope:SCOPE_SE
	s_wait_dscnt 0x0
	s_wait_kmcnt 0x0
	s_barrier_signal -1
	s_barrier_wait -1
	global_inv scope:SCOPE_SE
	s_clause 0x1
	global_load_b128 v[13:16], v12, s[8:9]
	global_load_b128 v[22:25], v22, s[8:9]
	v_lshlrev_b32_e32 v0, 2, v26
	v_lshrrev_b32_e32 v7, 1, v2
	v_lshlrev_b32_e32 v2, 2, v2
	v_lshlrev_b32_e32 v3, 2, v6
	v_lshrrev_b32_e32 v6, 1, v26
	v_add_nc_u32_e32 v1, v18, v0
	v_sub_nc_u32_e32 v0, v4, v0
	v_sub_nc_u32_e32 v2, v28, v2
	;; [unrolled: 1-line block ×3, first 2 shown]
	v_mul_u32_u24_e32 v10, 10, v6
	v_mul_lo_u32 v17, v7, 10
	ds_load_b32 v12, v1
	v_sub_nc_u32_e32 v29, v30, v5
	ds_load_b32 v11, v2
	ds_load_2addr_b32 v[2:3], v0 offset0:33 offset1:55
	ds_load_2addr_b32 v[4:5], v0 offset0:66 offset1:77
	;; [unrolled: 1-line block ×3, first 2 shown]
	ds_load_b32 v28, v28
	ds_load_b32 v31, v29
	v_or_b32_e32 v10, v10, v19
	v_or_b32_e32 v17, v17, v27
	s_delay_alu instid0(VALU_DEP_2)
	v_lshl_add_u32 v38, v10, 2, v18
	ds_load_u16 v10, v0 offset:134
	global_wb scope:SCOPE_SE
	s_wait_loadcnt_dscnt 0x0
	s_barrier_signal -1
	v_lshl_add_u32 v39, v17, 2, v18
	s_barrier_wait -1
	global_inv scope:SCOPE_SE
	v_lshrrev_b32_e32 v29, 16, v11
	v_lshrrev_b32_e32 v17, 16, v3
	;; [unrolled: 1-line block ×17, first 2 shown]
	v_mul_f16_e32 v45, v35, v27
	v_mul_f16_e32 v35, v35, v28
	;; [unrolled: 1-line block ×16, first 2 shown]
	v_fmac_f16_e32 v45, v13, v28
	v_fma_f16 v13, v13, v27, -v35
	v_fmac_f16_e32 v46, v14, v31
	v_fma_f16 v14, v14, v32, -v36
	;; [unrolled: 2-line block ×8, first 2 shown]
	v_add_f16_e32 v15, v46, v47
	v_sub_f16_e32 v17, v45, v46
	v_sub_f16_e32 v18, v48, v47
	v_sub_f16_e32 v23, v46, v45
	v_sub_f16_e32 v24, v47, v48
	v_add_f16_e32 v25, v30, v13
	v_add_f16_e32 v27, v14, v4
	v_sub_f16_e32 v28, v13, v14
	v_sub_f16_e32 v32, v6, v4
	v_add_f16_e32 v41, v50, v51
	v_add_f16_e32 v57, v3, v5
	;; [unrolled: 1-line block ×7, first 2 shown]
	v_sub_f16_e32 v16, v13, v6
	v_sub_f16_e32 v22, v14, v4
	;; [unrolled: 1-line block ×5, first 2 shown]
	v_add_f16_e32 v36, v11, v49
	v_sub_f16_e32 v42, v2, v7
	v_sub_f16_e32 v44, v49, v50
	;; [unrolled: 1-line block ×4, first 2 shown]
	v_fma_f16 v13, -0.5, v15, v12
	v_add_f16_e32 v15, v17, v18
	v_add_f16_e32 v23, v23, v24
	;; [unrolled: 1-line block ×3, first 2 shown]
	v_fma_f16 v31, -0.5, v27, v30
	v_add_f16_e32 v24, v28, v32
	v_fma_f16 v14, -0.5, v41, v11
	v_fma_f16 v32, -0.5, v57, v29
	v_sub_f16_e32 v40, v46, v47
	v_fmac_f16_e32 v12, -0.5, v19
	v_fmac_f16_e32 v30, -0.5, v33
	v_add_f16_e32 v56, v29, v2
	v_sub_f16_e32 v43, v3, v5
	v_sub_f16_e32 v58, v50, v51
	v_add_f16_e32 v10, v10, v46
	v_fmac_f16_e32 v11, -0.5, v53
	v_fmac_f16_e32 v29, -0.5, v61
	v_sub_f16_e32 v45, v52, v51
	v_sub_f16_e32 v59, v2, v3
	;; [unrolled: 1-line block ×3, first 2 shown]
	v_add_f16_e32 v25, v34, v35
	v_fmamk_f16 v18, v16, 0xbb9c, v13
	v_add_f16_e32 v4, v17, v4
	v_fmamk_f16 v33, v37, 0x3b9c, v31
	v_fmamk_f16 v17, v42, 0xbb9c, v14
	;; [unrolled: 1-line block ×4, first 2 shown]
	v_fmac_f16_e32 v12, 0xbb9c, v22
	v_fmamk_f16 v34, v40, 0xbb9c, v30
	v_fmac_f16_e32 v30, 0x3b9c, v40
	v_fmac_f16_e32 v13, 0x3b9c, v16
	;; [unrolled: 1-line block ×3, first 2 shown]
	v_sub_f16_e32 v2, v3, v2
	v_add_f16_e32 v27, v36, v50
	v_add_f16_e32 v3, v56, v3
	v_sub_f16_e32 v55, v51, v52
	v_sub_f16_e32 v62, v5, v7
	v_add_f16_e32 v28, v10, v47
	v_fmamk_f16 v10, v43, 0x3b9c, v11
	v_fmac_f16_e32 v11, 0xbb9c, v43
	v_fmamk_f16 v36, v58, 0xbb9c, v29
	v_fmac_f16_e32 v29, 0x3b9c, v58
	v_add_f16_e32 v41, v44, v45
	v_add_f16_e32 v45, v59, v60
	v_fmac_f16_e32 v14, 0x3b9c, v42
	v_fmac_f16_e32 v32, 0xbb9c, v49
	;; [unrolled: 1-line block ×12, first 2 shown]
	v_add_f16_e32 v46, v27, v51
	v_add_f16_e32 v3, v3, v5
	;; [unrolled: 1-line block ×4, first 2 shown]
	v_fmac_f16_e32 v10, 0xb8b4, v42
	v_fmac_f16_e32 v11, 0x38b4, v42
	;; [unrolled: 1-line block ×4, first 2 shown]
	v_add_f16_e32 v27, v28, v48
	v_add_f16_e32 v28, v4, v6
	v_fmac_f16_e32 v14, 0x38b4, v43
	v_fmac_f16_e32 v32, 0xb8b4, v58
	;; [unrolled: 1-line block ×12, first 2 shown]
	v_add_f16_e32 v16, v46, v52
	v_add_f16_e32 v37, v3, v7
	v_fmac_f16_e32 v10, 0x34f2, v44
	v_fmac_f16_e32 v11, 0x34f2, v44
	;; [unrolled: 1-line block ×6, first 2 shown]
	v_pack_b32_f16 v2, v27, v28
	v_pack_b32_f16 v4, v18, v33
	;; [unrolled: 1-line block ×10, first 2 shown]
	ds_store_2addr_b32 v38, v2, v4 offset1:2
	ds_store_2addr_b32 v38, v5, v6 offset0:4 offset1:6
	ds_store_b32 v38, v7 offset:32
	ds_store_2addr_b32 v39, v3, v15 offset1:2
	ds_store_2addr_b32 v39, v22, v23 offset0:4 offset1:6
	ds_store_b32 v39, v24 offset:32
	global_wb scope:SCOPE_SE
	s_wait_dscnt 0x0
	s_barrier_signal -1
	s_barrier_wait -1
	global_inv scope:SCOPE_SE
                                        ; implicit-def: $vgpr38
	s_and_saveexec_b32 s1, s0
	s_cbranch_execz .LBB0_14
; %bb.13:
	ds_load_b32 v27, v1
	ds_load_2addr_b32 v[10:11], v0 offset0:70 offset1:80
	ds_load_2addr_b32 v[14:15], v0 offset0:90 offset1:100
	;; [unrolled: 1-line block ×5, first 2 shown]
	s_wait_dscnt 0x5
	v_lshrrev_b32_e32 v28, 16, v27
	s_wait_dscnt 0x4
	v_lshrrev_b32_e32 v29, 16, v11
	;; [unrolled: 2-line block ×3, first 2 shown]
	v_lshrrev_b32_e32 v38, 16, v15
	s_wait_dscnt 0x2
	v_lshrrev_b32_e32 v33, 16, v18
	v_lshrrev_b32_e32 v34, 16, v19
	s_wait_dscnt 0x1
	v_lshrrev_b32_e32 v30, 16, v12
	;; [unrolled: 3-line block ×3, first 2 shown]
	v_lshrrev_b32_e32 v35, 16, v17
	v_lshrrev_b32_e32 v36, 16, v10
.LBB0_14:
	s_wait_alu 0xfffe
	s_or_b32 exec_lo, exec_lo, s1
	v_cmp_gt_u32_e64 s1, 10, v26
	s_delay_alu instid0(VALU_DEP_1)
	s_and_b32 s1, vcc_lo, s1
	s_wait_alu 0xfffe
	s_and_saveexec_b32 s4, s1
	s_cbranch_execz .LBB0_16
; %bb.15:
	v_dual_mov_b32 v1, 0 :: v_dual_add_nc_u32 v0, -10, v26
	v_add_nc_u32_e32 v42, 20, v26
	v_mad_co_u64_u32 v[24:25], null, s16, v26, 0
	s_delay_alu instid0(VALU_DEP_3) | instskip(SKIP_1) | instid1(VALU_DEP_4)
	v_cndmask_b32_e64 v0, v0, v26, s0
	v_add_nc_u32_e32 v43, 30, v26
	v_mad_co_u64_u32 v[47:48], null, s16, v42, 0
	v_add_nc_u32_e32 v41, 10, v26
	s_delay_alu instid0(VALU_DEP_4) | instskip(SKIP_2) | instid1(VALU_DEP_4)
	v_mul_i32_i24_e32 v0, 10, v0
	v_mad_co_u64_u32 v[53:54], null, s17, v26, v[25:26]
	v_mul_lo_u32 v39, s3, v20
	v_mad_co_u64_u32 v[45:46], null, s16, v41, 0
	s_delay_alu instid0(VALU_DEP_4)
	v_lshlrev_b64_e32 v[0:1], 2, v[0:1]
	v_mul_lo_u32 v40, s2, v21
	v_mad_co_u64_u32 v[20:21], null, s2, v20, 0
	v_add_nc_u32_e32 v44, 40, v26
	v_mad_co_u64_u32 v[49:50], null, s16, v43, 0
	v_add_co_u32 v4, vcc_lo, s8, v0
	s_wait_alu 0xfffd
	v_add_co_ci_u32_e32 v5, vcc_lo, s9, v1, vcc_lo
	v_mov_b32_e32 v25, v46
	s_clause 0x2
	global_load_b128 v[0:3], v[4:5], off offset:32
	global_load_b64 v[22:23], v[4:5], off offset:64
	global_load_b128 v[4:7], v[4:5], off offset:48
	v_mov_b32_e32 v46, v48
	v_mad_co_u64_u32 v[54:55], null, s17, v41, v[25:26]
	v_mov_b32_e32 v25, v53
	v_mad_co_u64_u32 v[51:52], null, s16, v44, 0
	v_add3_u32 v21, v21, v40, v39
	v_mov_b32_e32 v48, v50
	v_mad_co_u64_u32 v[41:42], null, s17, v42, v[46:47]
	v_lshlrev_b64_e32 v[8:9], 2, v[8:9]
	s_delay_alu instid0(VALU_DEP_4) | instskip(SKIP_4) | instid1(VALU_DEP_4)
	v_lshlrev_b64_e32 v[20:21], 2, v[20:21]
	v_mov_b32_e32 v50, v52
	v_mad_co_u64_u32 v[42:43], null, s17, v43, v[48:49]
	v_mov_b32_e32 v46, v54
	v_mov_b32_e32 v48, v41
	v_mad_co_u64_u32 v[43:44], null, s17, v44, v[50:51]
	v_add_co_u32 v44, vcc_lo, s6, v20
	s_wait_alu 0xfffd
	v_add_co_ci_u32_e32 v52, vcc_lo, s7, v21, vcc_lo
	v_mov_b32_e32 v50, v42
	s_delay_alu instid0(VALU_DEP_3) | instskip(SKIP_1) | instid1(VALU_DEP_3)
	v_add_co_u32 v44, vcc_lo, v44, v8
	s_wait_alu 0xfffd
	v_add_co_ci_u32_e32 v53, vcc_lo, v52, v9, vcc_lo
	v_lshlrev_b64_e32 v[8:9], 2, v[45:46]
	v_lshlrev_b64_e32 v[41:42], 2, v[49:50]
	;; [unrolled: 1-line block ×4, first 2 shown]
	v_add_nc_u32_e32 v56, 50, v26
	s_delay_alu instid0(VALU_DEP_3) | instskip(SKIP_1) | instid1(VALU_DEP_4)
	v_add_co_u32 v20, vcc_lo, v44, v20
	s_wait_alu 0xfffd
	v_add_co_ci_u32_e32 v21, vcc_lo, v53, v21, vcc_lo
	v_add_co_u32 v8, vcc_lo, v44, v8
	v_mad_co_u64_u32 v[39:40], null, s16, v56, 0
	s_wait_alu 0xfffd
	v_add_co_ci_u32_e32 v9, vcc_lo, v53, v9, vcc_lo
	s_wait_loadcnt 0x2
	v_lshrrev_b32_e32 v45, 16, v0
	s_wait_loadcnt 0x1
	v_lshrrev_b32_e32 v50, 16, v23
	v_lshrrev_b32_e32 v46, 16, v1
	;; [unrolled: 1-line block ×4, first 2 shown]
	s_wait_loadcnt 0x0
	v_lshrrev_b32_e32 v57, 16, v7
	v_mul_f16_e32 v58, v33, v45
	v_mul_f16_e32 v59, v38, v50
	;; [unrolled: 1-line block ×4, first 2 shown]
	v_lshrrev_b32_e32 v47, 16, v2
	v_mul_f16_e32 v60, v34, v46
	v_mul_f16_e32 v61, v32, v49
	;; [unrolled: 1-line block ×8, first 2 shown]
	v_fmac_f16_e32 v58, v18, v0
	v_fmac_f16_e32 v59, v15, v23
	v_fma_f16 v15, v38, v23, -v50
	v_fma_f16 v0, v33, v0, -v45
	v_lshrrev_b32_e32 v52, 16, v4
	v_lshrrev_b32_e32 v54, 16, v5
	;; [unrolled: 1-line block ×3, first 2 shown]
	v_mul_f16_e32 v62, v30, v47
	v_mul_f16_e32 v47, v12, v47
	v_fmac_f16_e32 v60, v19, v1
	v_fmac_f16_e32 v61, v14, v22
	v_fma_f16 v14, v32, v22, -v49
	v_fma_f16 v1, v34, v1, -v46
	v_fmac_f16_e32 v63, v11, v7
	v_fma_f16 v7, v29, v7, -v57
	v_fmac_f16_e32 v64, v13, v3
	v_fma_f16 v3, v31, v3, -v48
	v_add_f16_e32 v11, v0, v15
	v_sub_f16_e32 v29, v0, v15
	v_add_f16_e32 v0, v28, v0
	v_add_f16_e32 v31, v27, v58
	v_mul_f16_e32 v65, v36, v55
	v_mul_f16_e32 v55, v10, v55
	v_mul_f16_e32 v66, v37, v52
	v_mul_f16_e32 v67, v35, v54
	v_mul_f16_e32 v54, v17, v54
	v_mul_f16_e32 v52, v16, v52
	v_fmac_f16_e32 v62, v12, v2
	v_fma_f16 v2, v30, v2, -v47
	v_add_f16_e32 v13, v1, v14
	v_sub_f16_e32 v32, v1, v14
	v_add_f16_e32 v0, v0, v1
	v_add_f16_e32 v1, v31, v60
	v_fmac_f16_e32 v65, v10, v6
	v_fma_f16 v6, v36, v6, -v55
	v_fmac_f16_e32 v66, v16, v4
	v_fmac_f16_e32 v67, v17, v5
	v_fma_f16 v5, v35, v5, -v54
	v_fma_f16 v4, v37, v4, -v52
	v_add_f16_e32 v0, v0, v2
	v_add_f16_e32 v1, v1, v62
	v_sub_f16_e32 v10, v58, v59
	v_sub_f16_e32 v12, v60, v61
	;; [unrolled: 1-line block ×3, first 2 shown]
	v_add_f16_e32 v17, v2, v7
	v_sub_f16_e32 v18, v64, v65
	v_add_f16_e32 v19, v3, v6
	v_sub_f16_e32 v22, v66, v67
	v_add_f16_e32 v23, v4, v5
	v_add_f16_e32 v1, v1, v64
	;; [unrolled: 1-line block ×4, first 2 shown]
	v_sub_f16_e32 v34, v2, v7
	v_sub_f16_e32 v36, v3, v6
	;; [unrolled: 1-line block ×3, first 2 shown]
	v_mul_f16_e32 v46, 0xbb47, v10
	v_mul_f16_e32 v47, 0xba0c, v12
	;; [unrolled: 1-line block ×30, first 2 shown]
	v_add_f16_e32 v1, v1, v66
	v_add_f16_e32 v0, v0, v4
	;; [unrolled: 1-line block ×6, first 2 shown]
	v_mul_f16_e32 v31, 0x3853, v32
	v_mul_f16_e32 v60, 0xba0c, v32
	;; [unrolled: 1-line block ×20, first 2 shown]
	v_fmamk_f16 v101, v11, 0x36a6, v46
	v_fmamk_f16 v102, v13, 0xb93d, v47
	;; [unrolled: 1-line block ×16, first 2 shown]
	v_fma_f16 v76, v11, 0xbbad, -v76
	v_fma_f16 v70, v11, 0xb93d, -v70
	v_fma_f16 v54, v11, 0xb08e, -v54
	v_fma_f16 v11, v11, 0x36a6, -v46
	v_fmamk_f16 v46, v13, 0x3abb, v77
	v_fma_f16 v77, v13, 0x3abb, -v77
	v_fma_f16 v71, v13, 0xb08e, -v71
	v_fma_f16 v55, v13, 0xbbad, -v55
	v_fma_f16 v13, v13, 0xb93d, -v47
	v_fmamk_f16 v47, v17, 0xb93d, v78
	v_fma_f16 v78, v17, 0xb93d, -v78
	v_fma_f16 v72, v17, 0x3abb, -v72
	v_fma_f16 v57, v17, 0x36a6, -v57
	v_fma_f16 v17, v17, 0xbbad, -v48
	v_fmamk_f16 v48, v19, 0x36a6, v79
	v_fma_f16 v79, v19, 0x36a6, -v79
	v_fma_f16 v73, v19, 0xbbad, -v73
	v_fma_f16 v58, v19, 0x3abb, -v58
	v_fma_f16 v19, v19, 0xb08e, -v49
	v_fmamk_f16 v49, v23, 0xb08e, v80
	v_fma_f16 v80, v23, 0xb08e, -v80
	v_fma_f16 v74, v23, 0x36a6, -v74
	v_fma_f16 v68, v23, 0xb93d, -v68
	v_fma_f16 v23, v23, 0x3abb, -v50
	v_fmamk_f16 v50, v10, 0x3853, v81
	v_fmac_f16_e32 v81, 0xb853, v10
	v_fmamk_f16 v10, v12, 0x3b47, v82
	v_fmac_f16_e32 v82, 0xbb47, v12
	v_fmamk_f16 v12, v16, 0x3beb, v83
	;; [unrolled: 2-line block ×4, first 2 shown]
	v_fmac_f16_e32 v85, 0xb482, v22
	v_fma_f16 v22, v30, 0xbbad, -v86
	v_fma_f16 v117, v30, 0xb93d, -v75
	;; [unrolled: 1-line block ×4, first 2 shown]
	v_fmamk_f16 v120, v30, 0x3abb, v29
	v_add_f16_e32 v1, v1, v67
	v_add_f16_e32 v0, v0, v5
	v_fmac_f16_e32 v86, 0xbbad, v30
	v_fmac_f16_e32 v75, 0xb93d, v30
	;; [unrolled: 1-line block ×4, first 2 shown]
	v_fma_f16 v29, v30, 0x3abb, -v29
	v_fma_f16 v30, v33, 0x3abb, -v31
	v_fmac_f16_e32 v31, 0x3abb, v33
	v_fma_f16 v121, v33, 0xb08e, -v87
	v_fmac_f16_e32 v87, 0xb08e, v33
	;; [unrolled: 2-line block ×4, first 2 shown]
	v_fmamk_f16 v124, v33, 0x36a6, v32
	v_fma_f16 v32, v33, 0x36a6, -v32
	v_fma_f16 v2, v35, 0xb93d, -v89
	v_fmac_f16_e32 v89, 0xb93d, v35
	v_fma_f16 v33, v35, 0x3abb, -v91
	v_fmac_f16_e32 v91, 0x3abb, v35
	;; [unrolled: 2-line block ×4, first 2 shown]
	v_fmamk_f16 v126, v35, 0xb08e, v34
	v_fma_f16 v34, v35, 0xb08e, -v34
	v_fma_f16 v35, v37, 0x36a6, -v96
	v_fmac_f16_e32 v96, 0x36a6, v37
	v_fma_f16 v127, v37, 0xbbad, -v95
	v_fmac_f16_e32 v95, 0xbbad, v37
	;; [unrolled: 2-line block ×4, first 2 shown]
	v_fma_f16 v130, 0xb93d, v37, v36
	v_fma_f16 v36, v37, 0xb93d, -v36
	v_fma_f16 v37, v45, 0xb08e, -v100
	v_fmac_f16_e32 v100, 0xb08e, v45
	v_fma_f16 v131, v45, 0x36a6, -v99
	v_fmac_f16_e32 v99, 0x36a6, v45
	;; [unrolled: 2-line block ×4, first 2 shown]
	v_fma_f16 v134, 0xbbad, v45, v38
	v_fma_f16 v38, v45, 0xbbad, -v38
	v_add_f16_e32 v3, v28, v101
	v_add_f16_e32 v45, v28, v106
	;; [unrolled: 1-line block ×55, first 2 shown]
	v_add_f16_e64 v17, v28, v129
	v_add_f16_e32 v27, v29, v109
	v_add_f16_e64 v28, v32, v128
	v_add_f16_e32 v29, v45, v114
	v_add_f16_e32 v32, v33, v127
	;; [unrolled: 1-line block ×5, first 2 shown]
	v_add_f16_e64 v12, v12, v130
	v_add_f16_e32 v30, v76, v77
	v_add_f16_e32 v31, v86, v31
	;; [unrolled: 1-line block ×12, first 2 shown]
	v_add_f16_e64 v27, v28, v132
	v_add_f16_e32 v28, v29, v115
	v_add_f16_e64 v29, v32, v131
	v_add_f16_e32 v32, v33, v49
	v_add_f16_e32 v33, v2, v37
	;; [unrolled: 1-line block ×3, first 2 shown]
	v_add_f16_e64 v3, v12, v134
	v_add_f16_e32 v4, v4, v83
	v_add_f16_e32 v22, v30, v78
	;; [unrolled: 1-line block ×6, first 2 shown]
	v_pack_b32_f16 v0, v1, v0
	v_add_f16_e32 v35, v52, v58
	v_add_f16_e32 v6, v11, v23
	v_pack_b32_f16 v1, v3, v2
	v_add_f16_e32 v2, v13, v97
	v_mov_b32_e32 v52, v43
	v_add_f16_e32 v4, v4, v84
	v_add_f16_e32 v5, v5, v36
	;; [unrolled: 1-line block ×5, first 2 shown]
	s_clause 0x1
	global_store_b32 v[20:21], v0, off
	global_store_b32 v[8:9], v1, off
	v_add_co_u32 v0, vcc_lo, v44, v24
	v_pack_b32_f16 v9, v2, v6
	v_lshlrev_b64_e32 v[2:3], 2, v[51:52]
	s_wait_alu 0xfffd
	v_add_co_ci_u32_e32 v1, vcc_lo, v53, v25, vcc_lo
	v_add_f16_e32 v15, v4, v85
	v_add_f16_e32 v18, v5, v38
	v_mov_b32_e32 v4, v40
	v_add_co_u32 v5, vcc_lo, v44, v41
	v_add_f16_e32 v14, v31, v74
	v_add_f16_e32 v31, v34, v99
	;; [unrolled: 1-line block ×4, first 2 shown]
	s_wait_alu 0xfffd
	v_add_co_ci_u32_e32 v6, vcc_lo, v53, v42, vcc_lo
	v_add_co_u32 v2, vcc_lo, v44, v2
	v_mad_co_u64_u32 v[7:8], null, s17, v56, v[4:5]
	v_pack_b32_f16 v4, v12, v10
	s_wait_alu 0xfffd
	v_add_co_ci_u32_e32 v3, vcc_lo, v53, v3, vcc_lo
	v_pack_b32_f16 v8, v31, v14
	global_store_b32 v[0:1], v9, off
	v_add_nc_u32_e32 v9, 60, v26
	v_add_nc_u32_e32 v10, 0x46, v26
	v_or_b32_e32 v12, 0x50, v26
	s_clause 0x1
	global_store_b32 v[5:6], v4, off
	global_store_b32 v[2:3], v8, off
	v_mad_co_u64_u32 v[2:3], null, s16, v9, 0
	v_mad_co_u64_u32 v[4:5], null, s16, v10, 0
	v_mov_b32_e32 v40, v7
	v_mad_co_u64_u32 v[6:7], null, s16, v12, 0
	v_add_f16_e32 v22, v22, v79
	v_add_f16_e32 v30, v30, v96
	s_delay_alu instid0(VALU_DEP_4)
	v_lshlrev_b64_e32 v[0:1], 2, v[39:40]
	v_mad_co_u64_u32 v[8:9], null, s17, v9, v[3:4]
	v_add_nc_u32_e32 v14, 0x5a, v26
	v_mad_co_u64_u32 v[9:10], null, s17, v10, v[5:6]
	v_mov_b32_e32 v5, v7
	v_add_f16_e32 v22, v22, v80
	v_add_f16_e32 v30, v30, v100
	v_mad_co_u64_u32 v[10:11], null, s16, v14, 0
	v_add_co_u32 v0, vcc_lo, v44, v0
	v_mov_b32_e32 v3, v8
	v_mad_co_u64_u32 v[7:8], null, s17, v12, v[5:6]
	v_add_nc_u32_e32 v12, 0x64, v26
	s_wait_alu 0xfffd
	v_add_co_ci_u32_e32 v1, vcc_lo, v53, v1, vcc_lo
	v_pack_b32_f16 v13, v30, v22
	v_mov_b32_e32 v5, v9
	v_mad_co_u64_u32 v[8:9], null, s16, v12, 0
	v_lshlrev_b64_e32 v[6:7], 2, v[6:7]
	global_store_b32 v[0:1], v13, off
	v_lshlrev_b64_e32 v[0:1], 2, v[2:3]
	v_mov_b32_e32 v2, v11
	v_lshlrev_b64_e32 v[4:5], 2, v[4:5]
	v_add_f16_e64 v17, v17, v133
	s_delay_alu instid0(VALU_DEP_3) | instskip(SKIP_4) | instid1(VALU_DEP_3)
	v_mad_co_u64_u32 v[2:3], null, s17, v14, v[2:3]
	v_mov_b32_e32 v3, v9
	v_add_co_u32 v0, vcc_lo, v44, v0
	s_wait_alu 0xfffd
	v_add_co_ci_u32_e32 v1, vcc_lo, v53, v1, vcc_lo
	v_mad_co_u64_u32 v[12:13], null, s17, v12, v[3:4]
	v_mov_b32_e32 v11, v2
	v_add_co_u32 v2, vcc_lo, v44, v4
	s_wait_alu 0xfffd
	v_add_co_ci_u32_e32 v3, vcc_lo, v53, v5, vcc_lo
	s_delay_alu instid0(VALU_DEP_3) | instskip(SKIP_4) | instid1(VALU_DEP_3)
	v_lshlrev_b64_e32 v[4:5], 2, v[10:11]
	v_mov_b32_e32 v9, v12
	v_add_co_u32 v6, vcc_lo, v44, v6
	s_wait_alu 0xfffd
	v_add_co_ci_u32_e32 v7, vcc_lo, v53, v7, vcc_lo
	v_lshlrev_b64_e32 v[8:9], 2, v[8:9]
	v_add_co_u32 v4, vcc_lo, v44, v4
	v_pack_b32_f16 v14, v33, v32
	v_pack_b32_f16 v13, v29, v28
	s_wait_alu 0xfffd
	v_add_co_ci_u32_e32 v5, vcc_lo, v53, v5, vcc_lo
	v_pack_b32_f16 v10, v27, v19
	v_add_co_u32 v8, vcc_lo, v44, v8
	v_pack_b32_f16 v11, v17, v16
	s_wait_alu 0xfffd
	v_add_co_ci_u32_e32 v9, vcc_lo, v53, v9, vcc_lo
	v_pack_b32_f16 v12, v18, v15
	s_clause 0x4
	global_store_b32 v[0:1], v14, off
	global_store_b32 v[2:3], v13, off
	;; [unrolled: 1-line block ×5, first 2 shown]
.LBB0_16:
	s_nop 0
	s_sendmsg sendmsg(MSG_DEALLOC_VGPRS)
	s_endpgm
	.section	.rodata,"a",@progbits
	.p2align	6, 0x0
	.amdhsa_kernel fft_rtc_back_len110_factors_2_5_11_wgs_198_tpt_11_half_op_CI_CI_sbrr_dirReg
		.amdhsa_group_segment_fixed_size 0
		.amdhsa_private_segment_fixed_size 0
		.amdhsa_kernarg_size 104
		.amdhsa_user_sgpr_count 2
		.amdhsa_user_sgpr_dispatch_ptr 0
		.amdhsa_user_sgpr_queue_ptr 0
		.amdhsa_user_sgpr_kernarg_segment_ptr 1
		.amdhsa_user_sgpr_dispatch_id 0
		.amdhsa_user_sgpr_private_segment_size 0
		.amdhsa_wavefront_size32 1
		.amdhsa_uses_dynamic_stack 0
		.amdhsa_enable_private_segment 0
		.amdhsa_system_sgpr_workgroup_id_x 1
		.amdhsa_system_sgpr_workgroup_id_y 0
		.amdhsa_system_sgpr_workgroup_id_z 0
		.amdhsa_system_sgpr_workgroup_info 0
		.amdhsa_system_vgpr_workitem_id 0
		.amdhsa_next_free_vgpr 135
		.amdhsa_next_free_sgpr 43
		.amdhsa_reserve_vcc 1
		.amdhsa_float_round_mode_32 0
		.amdhsa_float_round_mode_16_64 0
		.amdhsa_float_denorm_mode_32 3
		.amdhsa_float_denorm_mode_16_64 3
		.amdhsa_fp16_overflow 0
		.amdhsa_workgroup_processor_mode 1
		.amdhsa_memory_ordered 1
		.amdhsa_forward_progress 0
		.amdhsa_round_robin_scheduling 0
		.amdhsa_exception_fp_ieee_invalid_op 0
		.amdhsa_exception_fp_denorm_src 0
		.amdhsa_exception_fp_ieee_div_zero 0
		.amdhsa_exception_fp_ieee_overflow 0
		.amdhsa_exception_fp_ieee_underflow 0
		.amdhsa_exception_fp_ieee_inexact 0
		.amdhsa_exception_int_div_zero 0
	.end_amdhsa_kernel
	.text
.Lfunc_end0:
	.size	fft_rtc_back_len110_factors_2_5_11_wgs_198_tpt_11_half_op_CI_CI_sbrr_dirReg, .Lfunc_end0-fft_rtc_back_len110_factors_2_5_11_wgs_198_tpt_11_half_op_CI_CI_sbrr_dirReg
                                        ; -- End function
	.section	.AMDGPU.csdata,"",@progbits
; Kernel info:
; codeLenInByte = 7136
; NumSgprs: 45
; NumVgprs: 135
; ScratchSize: 0
; MemoryBound: 0
; FloatMode: 240
; IeeeMode: 1
; LDSByteSize: 0 bytes/workgroup (compile time only)
; SGPRBlocks: 5
; VGPRBlocks: 16
; NumSGPRsForWavesPerEU: 45
; NumVGPRsForWavesPerEU: 135
; Occupancy: 10
; WaveLimiterHint : 1
; COMPUTE_PGM_RSRC2:SCRATCH_EN: 0
; COMPUTE_PGM_RSRC2:USER_SGPR: 2
; COMPUTE_PGM_RSRC2:TRAP_HANDLER: 0
; COMPUTE_PGM_RSRC2:TGID_X_EN: 1
; COMPUTE_PGM_RSRC2:TGID_Y_EN: 0
; COMPUTE_PGM_RSRC2:TGID_Z_EN: 0
; COMPUTE_PGM_RSRC2:TIDIG_COMP_CNT: 0
	.text
	.p2alignl 7, 3214868480
	.fill 96, 4, 3214868480
	.type	__hip_cuid_38b99b8d0fdda093,@object ; @__hip_cuid_38b99b8d0fdda093
	.section	.bss,"aw",@nobits
	.globl	__hip_cuid_38b99b8d0fdda093
__hip_cuid_38b99b8d0fdda093:
	.byte	0                               ; 0x0
	.size	__hip_cuid_38b99b8d0fdda093, 1

	.ident	"AMD clang version 19.0.0git (https://github.com/RadeonOpenCompute/llvm-project roc-6.4.0 25133 c7fe45cf4b819c5991fe208aaa96edf142730f1d)"
	.section	".note.GNU-stack","",@progbits
	.addrsig
	.addrsig_sym __hip_cuid_38b99b8d0fdda093
	.amdgpu_metadata
---
amdhsa.kernels:
  - .args:
      - .actual_access:  read_only
        .address_space:  global
        .offset:         0
        .size:           8
        .value_kind:     global_buffer
      - .offset:         8
        .size:           8
        .value_kind:     by_value
      - .actual_access:  read_only
        .address_space:  global
        .offset:         16
        .size:           8
        .value_kind:     global_buffer
      - .actual_access:  read_only
        .address_space:  global
        .offset:         24
        .size:           8
        .value_kind:     global_buffer
      - .actual_access:  read_only
        .address_space:  global
        .offset:         32
        .size:           8
        .value_kind:     global_buffer
      - .offset:         40
        .size:           8
        .value_kind:     by_value
      - .actual_access:  read_only
        .address_space:  global
        .offset:         48
        .size:           8
        .value_kind:     global_buffer
      - .actual_access:  read_only
        .address_space:  global
        .offset:         56
        .size:           8
        .value_kind:     global_buffer
      - .offset:         64
        .size:           4
        .value_kind:     by_value
      - .actual_access:  read_only
        .address_space:  global
        .offset:         72
        .size:           8
        .value_kind:     global_buffer
      - .actual_access:  read_only
        .address_space:  global
        .offset:         80
        .size:           8
        .value_kind:     global_buffer
      - .actual_access:  read_only
        .address_space:  global
        .offset:         88
        .size:           8
        .value_kind:     global_buffer
      - .actual_access:  write_only
        .address_space:  global
        .offset:         96
        .size:           8
        .value_kind:     global_buffer
    .group_segment_fixed_size: 0
    .kernarg_segment_align: 8
    .kernarg_segment_size: 104
    .language:       OpenCL C
    .language_version:
      - 2
      - 0
    .max_flat_workgroup_size: 198
    .name:           fft_rtc_back_len110_factors_2_5_11_wgs_198_tpt_11_half_op_CI_CI_sbrr_dirReg
    .private_segment_fixed_size: 0
    .sgpr_count:     45
    .sgpr_spill_count: 0
    .symbol:         fft_rtc_back_len110_factors_2_5_11_wgs_198_tpt_11_half_op_CI_CI_sbrr_dirReg.kd
    .uniform_work_group_size: 1
    .uses_dynamic_stack: false
    .vgpr_count:     135
    .vgpr_spill_count: 0
    .wavefront_size: 32
    .workgroup_processor_mode: 1
amdhsa.target:   amdgcn-amd-amdhsa--gfx1201
amdhsa.version:
  - 1
  - 2
...

	.end_amdgpu_metadata
